;; amdgpu-corpus repo=ROCm/rocSOLVER kind=compiled arch=gfx1250 opt=O3
	.amdgcn_target "amdgcn-amd-amdhsa--gfx1250"
	.amdhsa_code_object_version 6
	.section	.text._ZN9rocsolver6v33100L10reset_infoIiiiEEvPT_T0_T1_S4_,"axG",@progbits,_ZN9rocsolver6v33100L10reset_infoIiiiEEvPT_T0_T1_S4_,comdat
	.globl	_ZN9rocsolver6v33100L10reset_infoIiiiEEvPT_T0_T1_S4_ ; -- Begin function _ZN9rocsolver6v33100L10reset_infoIiiiEEvPT_T0_T1_S4_
	.p2align	8
	.type	_ZN9rocsolver6v33100L10reset_infoIiiiEEvPT_T0_T1_S4_,@function
_ZN9rocsolver6v33100L10reset_infoIiiiEEvPT_T0_T1_S4_: ; @_ZN9rocsolver6v33100L10reset_infoIiiiEEvPT_T0_T1_S4_
; %bb.0:
	s_clause 0x1
	s_load_b32 s2, s[0:1], 0x24
	s_load_b96 s[4:6], s[0:1], 0x8
	s_bfe_u32 s3, ttmp6, 0x4000c
	s_and_b32 s7, ttmp6, 15
	s_add_co_i32 s3, s3, 1
	s_getreg_b32 s8, hwreg(HW_REG_IB_STS2, 6, 4)
	s_mul_i32 s3, ttmp9, s3
	s_delay_alu instid0(SALU_CYCLE_1) | instskip(SKIP_4) | instid1(SALU_CYCLE_1)
	s_add_co_i32 s7, s7, s3
	s_wait_kmcnt 0x0
	s_and_b32 s2, s2, 0xffff
	s_cmp_eq_u32 s8, 0
	s_cselect_b32 s3, ttmp9, s7
	v_mad_u32 v0, s3, s2, v0
	s_mov_b32 s2, exec_lo
	s_delay_alu instid0(VALU_DEP_1)
	v_cmpx_gt_i32_e64 s4, v0
	s_cbranch_execz .LBB0_2
; %bb.1:
	s_load_b64 s[0:1], s[0:1], 0x0
	v_mad_u32 v1, v0, s6, s5
	s_wait_kmcnt 0x0
	global_store_b32 v0, v1, s[0:1] scale_offset
.LBB0_2:
	s_endpgm
	.section	.rodata,"a",@progbits
	.p2align	6, 0x0
	.amdhsa_kernel _ZN9rocsolver6v33100L10reset_infoIiiiEEvPT_T0_T1_S4_
		.amdhsa_group_segment_fixed_size 0
		.amdhsa_private_segment_fixed_size 0
		.amdhsa_kernarg_size 280
		.amdhsa_user_sgpr_count 2
		.amdhsa_user_sgpr_dispatch_ptr 0
		.amdhsa_user_sgpr_queue_ptr 0
		.amdhsa_user_sgpr_kernarg_segment_ptr 1
		.amdhsa_user_sgpr_dispatch_id 0
		.amdhsa_user_sgpr_kernarg_preload_length 0
		.amdhsa_user_sgpr_kernarg_preload_offset 0
		.amdhsa_user_sgpr_private_segment_size 0
		.amdhsa_wavefront_size32 1
		.amdhsa_uses_dynamic_stack 0
		.amdhsa_enable_private_segment 0
		.amdhsa_system_sgpr_workgroup_id_x 1
		.amdhsa_system_sgpr_workgroup_id_y 0
		.amdhsa_system_sgpr_workgroup_id_z 0
		.amdhsa_system_sgpr_workgroup_info 0
		.amdhsa_system_vgpr_workitem_id 0
		.amdhsa_next_free_vgpr 2
		.amdhsa_next_free_sgpr 9
		.amdhsa_named_barrier_count 0
		.amdhsa_reserve_vcc 0
		.amdhsa_float_round_mode_32 0
		.amdhsa_float_round_mode_16_64 0
		.amdhsa_float_denorm_mode_32 3
		.amdhsa_float_denorm_mode_16_64 3
		.amdhsa_fp16_overflow 0
		.amdhsa_memory_ordered 1
		.amdhsa_forward_progress 1
		.amdhsa_inst_pref_size 2
		.amdhsa_round_robin_scheduling 0
		.amdhsa_exception_fp_ieee_invalid_op 0
		.amdhsa_exception_fp_denorm_src 0
		.amdhsa_exception_fp_ieee_div_zero 0
		.amdhsa_exception_fp_ieee_overflow 0
		.amdhsa_exception_fp_ieee_underflow 0
		.amdhsa_exception_fp_ieee_inexact 0
		.amdhsa_exception_int_div_zero 0
	.end_amdhsa_kernel
	.section	.text._ZN9rocsolver6v33100L10reset_infoIiiiEEvPT_T0_T1_S4_,"axG",@progbits,_ZN9rocsolver6v33100L10reset_infoIiiiEEvPT_T0_T1_S4_,comdat
.Lfunc_end0:
	.size	_ZN9rocsolver6v33100L10reset_infoIiiiEEvPT_T0_T1_S4_, .Lfunc_end0-_ZN9rocsolver6v33100L10reset_infoIiiiEEvPT_T0_T1_S4_
                                        ; -- End function
	.set _ZN9rocsolver6v33100L10reset_infoIiiiEEvPT_T0_T1_S4_.num_vgpr, 2
	.set _ZN9rocsolver6v33100L10reset_infoIiiiEEvPT_T0_T1_S4_.num_agpr, 0
	.set _ZN9rocsolver6v33100L10reset_infoIiiiEEvPT_T0_T1_S4_.numbered_sgpr, 9
	.set _ZN9rocsolver6v33100L10reset_infoIiiiEEvPT_T0_T1_S4_.num_named_barrier, 0
	.set _ZN9rocsolver6v33100L10reset_infoIiiiEEvPT_T0_T1_S4_.private_seg_size, 0
	.set _ZN9rocsolver6v33100L10reset_infoIiiiEEvPT_T0_T1_S4_.uses_vcc, 0
	.set _ZN9rocsolver6v33100L10reset_infoIiiiEEvPT_T0_T1_S4_.uses_flat_scratch, 0
	.set _ZN9rocsolver6v33100L10reset_infoIiiiEEvPT_T0_T1_S4_.has_dyn_sized_stack, 0
	.set _ZN9rocsolver6v33100L10reset_infoIiiiEEvPT_T0_T1_S4_.has_recursion, 0
	.set _ZN9rocsolver6v33100L10reset_infoIiiiEEvPT_T0_T1_S4_.has_indirect_call, 0
	.section	.AMDGPU.csdata,"",@progbits
; Kernel info:
; codeLenInByte = 136
; TotalNumSgprs: 9
; NumVgprs: 2
; ScratchSize: 0
; MemoryBound: 0
; FloatMode: 240
; IeeeMode: 1
; LDSByteSize: 0 bytes/workgroup (compile time only)
; SGPRBlocks: 0
; VGPRBlocks: 0
; NumSGPRsForWavesPerEU: 9
; NumVGPRsForWavesPerEU: 2
; NamedBarCnt: 0
; Occupancy: 16
; WaveLimiterHint : 0
; COMPUTE_PGM_RSRC2:SCRATCH_EN: 0
; COMPUTE_PGM_RSRC2:USER_SGPR: 2
; COMPUTE_PGM_RSRC2:TRAP_HANDLER: 0
; COMPUTE_PGM_RSRC2:TGID_X_EN: 1
; COMPUTE_PGM_RSRC2:TGID_Y_EN: 0
; COMPUTE_PGM_RSRC2:TGID_Z_EN: 0
; COMPUTE_PGM_RSRC2:TIDIG_COMP_CNT: 0
	.section	.text._ZN9rocsolver6v33100L15rf_sumLU_kernelIfEEviiPiS2_PT_iS2_S2_S4_S2_S2_S4_,"axG",@progbits,_ZN9rocsolver6v33100L15rf_sumLU_kernelIfEEviiPiS2_PT_iS2_S2_S4_S2_S2_S4_,comdat
	.globl	_ZN9rocsolver6v33100L15rf_sumLU_kernelIfEEviiPiS2_PT_iS2_S2_S4_S2_S2_S4_ ; -- Begin function _ZN9rocsolver6v33100L15rf_sumLU_kernelIfEEviiPiS2_PT_iS2_S2_S4_S2_S2_S4_
	.p2align	8
	.type	_ZN9rocsolver6v33100L15rf_sumLU_kernelIfEEviiPiS2_PT_iS2_S2_S4_S2_S2_S4_,@function
_ZN9rocsolver6v33100L15rf_sumLU_kernelIfEEviiPiS2_PT_iS2_S2_S4_S2_S2_S4_: ; @_ZN9rocsolver6v33100L15rf_sumLU_kernelIfEEviiPiS2_PT_iS2_S2_S4_S2_S2_S4_
; %bb.0:
	s_clause 0x4
	s_load_b32 s20, s[0:1], 0x0
	s_load_b128 s[12:15], s[0:1], 0x8
	s_load_b64 s[2:3], s[0:1], 0x18
	s_load_b256 s[4:11], s[0:1], 0x28
	s_load_b128 s[16:19], s[0:1], 0x48
	s_mov_b32 s21, exec_lo
	s_wait_kmcnt 0x0
	v_cmpx_ge_i32_e64 s20, v0
	s_cbranch_execz .LBB1_3
; %bb.1:
	s_load_b32 s22, s[0:1], 0x64
	v_dual_mov_b32 v2, v0 :: v_dual_sub_nc_u32 v1, 0, v0
	s_mov_b32 s23, 0
	s_wait_kmcnt 0x0
	s_and_b32 s22, s22, 0xffff
.LBB1_2:                                ; =>This Inner Loop Header: Depth=1
	s_clause 0x1
	global_load_b32 v3, v2, s[12:13] scale_offset
	global_load_b32 v4, v2, s[4:5] scale_offset
	s_wait_loadcnt 0x0
	v_add3_u32 v3, v3, v4, v1
	v_subrev_nc_u32_e32 v1, s22, v1
	global_store_b32 v2, v3, s[10:11] scale_offset
	s_wait_xcnt 0x0
	v_add_nc_u32_e32 v2, s22, v2
	s_delay_alu instid0(VALU_DEP_1) | instskip(SKIP_1) | instid1(SALU_CYCLE_1)
	v_cmp_lt_i32_e32 vcc_lo, s20, v2
	s_or_b32 s23, vcc_lo, s23
	s_and_not1_b32 exec_lo, exec_lo, s23
	s_cbranch_execnz .LBB1_2
.LBB1_3:
	s_or_b32 exec_lo, exec_lo, s21
	s_wait_storecnt 0x0
	s_barrier_signal -1
	s_barrier_wait -1
	s_mov_b32 s21, exec_lo
	v_cmpx_gt_i32_e64 s20, v0
	s_cbranch_execz .LBB1_12
; %bb.4:
	s_load_b32 s0, s[0:1], 0x64
	s_wait_xcnt 0x0
	s_mov_b32 s1, 0
	s_wait_kmcnt 0x0
	s_and_b32 s0, s0, 0xffff
	s_branch .LBB1_6
.LBB1_5:                                ;   in Loop: Header=BB1_6 Depth=1
	s_or_b32 exec_lo, exec_lo, s21
	v_add_nc_u32_e32 v0, s0, v0
	s_delay_alu instid0(VALU_DEP_1) | instskip(SKIP_1) | instid1(SALU_CYCLE_1)
	v_cmp_le_i32_e32 vcc_lo, s20, v0
	s_or_b32 s1, vcc_lo, s1
	s_and_not1_b32 exec_lo, exec_lo, s1
	s_cbranch_execz .LBB1_12
.LBB1_6:                                ; =>This Loop Header: Depth=1
                                        ;     Child Loop BB1_8 Depth 2
                                        ;     Child Loop BB1_11 Depth 2
	v_ashrrev_i32_e32 v1, 31, v0
	s_mov_b32 s21, exec_lo
	s_delay_alu instid0(VALU_DEP_1)
	v_lshl_add_u64 v[2:3], v[0:1], 2, s[12:13]
	global_load_b64 v[4:5], v[2:3], off
	s_wait_loadcnt 0x0
	v_add_nc_u32_e32 v10, -1, v5
	s_wait_xcnt 0x0
	v_lshl_add_u64 v[2:3], v[0:1], 2, s[10:11]
	s_delay_alu instid0(VALU_DEP_2)
	v_cmpx_lt_i32_e64 v4, v10
	s_cbranch_execz .LBB1_9
; %bb.7:                                ;   in Loop: Header=BB1_6 Depth=1
	v_ashrrev_i32_e32 v5, 31, v4
	s_mov_b32 s22, 0
	s_mov_b32 s23, 0
	s_delay_alu instid0(VALU_DEP_1) | instskip(NEXT) | instid1(VALU_DEP_1)
	v_lshlrev_b64_e32 v[8:9], 2, v[4:5]
	v_add_nc_u64_e32 v[6:7], s[14:15], v[8:9]
	v_add_nc_u64_e32 v[8:9], s[2:3], v[8:9]
.LBB1_8:                                ;   Parent Loop BB1_6 Depth=1
                                        ; =>  This Inner Loop Header: Depth=2
	global_load_b32 v5, v[2:3], off
	global_load_b32 v11, v[6:7], off
	;; [unrolled: 1-line block ×3, first 2 shown]
	s_wait_xcnt 0x1
	v_add_nc_u64_e32 v[6:7], 4, v[6:7]
	s_wait_xcnt 0x0
	v_add_nc_u64_e32 v[8:9], 4, v[8:9]
	s_wait_loadcnt 0x2
	v_add_nc_u32_e32 v5, s23, v5
	s_add_co_i32 s23, s23, 1
	s_delay_alu instid0(SALU_CYCLE_1)
	v_add_nc_u32_e32 v13, s23, v4
	s_wait_loadcnt 0x1
	global_store_b32 v5, v11, s[16:17] scale_offset
	s_wait_loadcnt 0x0
	global_store_b32 v5, v12, s[18:19] scale_offset
	v_cmp_ge_i32_e32 vcc_lo, v13, v10
	s_or_b32 s22, vcc_lo, s22
	s_wait_xcnt 0x0
	s_and_not1_b32 exec_lo, exec_lo, s22
	s_cbranch_execnz .LBB1_8
.LBB1_9:                                ;   in Loop: Header=BB1_6 Depth=1
	s_or_b32 exec_lo, exec_lo, s21
	v_lshl_add_u64 v[4:5], v[0:1], 2, s[4:5]
	s_mov_b32 s21, exec_lo
	global_load_b64 v[4:5], v[4:5], off
	s_wait_loadcnt 0x0
	v_cmpx_lt_i32_e64 v4, v5
	s_cbranch_execz .LBB1_5
; %bb.10:                               ;   in Loop: Header=BB1_6 Depth=1
	v_dual_mov_b32 v6, v4 :: v_dual_ashrrev_i32 v7, 31, v4
	v_sub_nc_u32_e32 v1, 0, v5
	s_mov_b32 s22, 0
	s_delay_alu instid0(VALU_DEP_2) | instskip(NEXT) | instid1(VALU_DEP_1)
	v_lshlrev_b64_e32 v[8:9], 2, v[6:7]
	v_add_nc_u64_e32 v[6:7], s[6:7], v[8:9]
	v_add_nc_u64_e32 v[8:9], s[8:9], v[8:9]
.LBB1_11:                               ;   Parent Loop BB1_6 Depth=1
                                        ; =>  This Inner Loop Header: Depth=2
	global_load_b32 v10, v[2:3], off offset:4
	global_load_b32 v11, v[6:7], off
	global_load_b32 v12, v[8:9], off
	s_wait_xcnt 0x1
	v_add_nc_u64_e32 v[6:7], 4, v[6:7]
	s_wait_xcnt 0x0
	v_add_nc_u64_e32 v[8:9], 4, v[8:9]
	s_wait_loadcnt 0x2
	v_add3_u32 v10, v1, v4, v10
	v_add_nc_u32_e32 v4, 1, v4
	s_wait_loadcnt 0x1
	global_store_b32 v10, v11, s[16:17] scale_offset
	s_wait_loadcnt 0x0
	global_store_b32 v10, v12, s[18:19] scale_offset
	v_cmp_ge_i32_e32 vcc_lo, v4, v5
	s_or_b32 s22, vcc_lo, s22
	s_wait_xcnt 0x0
	s_and_not1_b32 exec_lo, exec_lo, s22
	s_cbranch_execnz .LBB1_11
	s_branch .LBB1_5
.LBB1_12:
	s_endpgm
	.section	.rodata,"a",@progbits
	.p2align	6, 0x0
	.amdhsa_kernel _ZN9rocsolver6v33100L15rf_sumLU_kernelIfEEviiPiS2_PT_iS2_S2_S4_S2_S2_S4_
		.amdhsa_group_segment_fixed_size 0
		.amdhsa_private_segment_fixed_size 0
		.amdhsa_kernarg_size 344
		.amdhsa_user_sgpr_count 2
		.amdhsa_user_sgpr_dispatch_ptr 0
		.amdhsa_user_sgpr_queue_ptr 0
		.amdhsa_user_sgpr_kernarg_segment_ptr 1
		.amdhsa_user_sgpr_dispatch_id 0
		.amdhsa_user_sgpr_kernarg_preload_length 0
		.amdhsa_user_sgpr_kernarg_preload_offset 0
		.amdhsa_user_sgpr_private_segment_size 0
		.amdhsa_wavefront_size32 1
		.amdhsa_uses_dynamic_stack 0
		.amdhsa_enable_private_segment 0
		.amdhsa_system_sgpr_workgroup_id_x 1
		.amdhsa_system_sgpr_workgroup_id_y 0
		.amdhsa_system_sgpr_workgroup_id_z 0
		.amdhsa_system_sgpr_workgroup_info 0
		.amdhsa_system_vgpr_workitem_id 0
		.amdhsa_next_free_vgpr 14
		.amdhsa_next_free_sgpr 24
		.amdhsa_named_barrier_count 0
		.amdhsa_reserve_vcc 1
		.amdhsa_float_round_mode_32 0
		.amdhsa_float_round_mode_16_64 0
		.amdhsa_float_denorm_mode_32 3
		.amdhsa_float_denorm_mode_16_64 3
		.amdhsa_fp16_overflow 0
		.amdhsa_memory_ordered 1
		.amdhsa_forward_progress 1
		.amdhsa_inst_pref_size 6
		.amdhsa_round_robin_scheduling 0
		.amdhsa_exception_fp_ieee_invalid_op 0
		.amdhsa_exception_fp_denorm_src 0
		.amdhsa_exception_fp_ieee_div_zero 0
		.amdhsa_exception_fp_ieee_overflow 0
		.amdhsa_exception_fp_ieee_underflow 0
		.amdhsa_exception_fp_ieee_inexact 0
		.amdhsa_exception_int_div_zero 0
	.end_amdhsa_kernel
	.section	.text._ZN9rocsolver6v33100L15rf_sumLU_kernelIfEEviiPiS2_PT_iS2_S2_S4_S2_S2_S4_,"axG",@progbits,_ZN9rocsolver6v33100L15rf_sumLU_kernelIfEEviiPiS2_PT_iS2_S2_S4_S2_S2_S4_,comdat
.Lfunc_end1:
	.size	_ZN9rocsolver6v33100L15rf_sumLU_kernelIfEEviiPiS2_PT_iS2_S2_S4_S2_S2_S4_, .Lfunc_end1-_ZN9rocsolver6v33100L15rf_sumLU_kernelIfEEviiPiS2_PT_iS2_S2_S4_S2_S2_S4_
                                        ; -- End function
	.set _ZN9rocsolver6v33100L15rf_sumLU_kernelIfEEviiPiS2_PT_iS2_S2_S4_S2_S2_S4_.num_vgpr, 14
	.set _ZN9rocsolver6v33100L15rf_sumLU_kernelIfEEviiPiS2_PT_iS2_S2_S4_S2_S2_S4_.num_agpr, 0
	.set _ZN9rocsolver6v33100L15rf_sumLU_kernelIfEEviiPiS2_PT_iS2_S2_S4_S2_S2_S4_.numbered_sgpr, 24
	.set _ZN9rocsolver6v33100L15rf_sumLU_kernelIfEEviiPiS2_PT_iS2_S2_S4_S2_S2_S4_.num_named_barrier, 0
	.set _ZN9rocsolver6v33100L15rf_sumLU_kernelIfEEviiPiS2_PT_iS2_S2_S4_S2_S2_S4_.private_seg_size, 0
	.set _ZN9rocsolver6v33100L15rf_sumLU_kernelIfEEviiPiS2_PT_iS2_S2_S4_S2_S2_S4_.uses_vcc, 1
	.set _ZN9rocsolver6v33100L15rf_sumLU_kernelIfEEviiPiS2_PT_iS2_S2_S4_S2_S2_S4_.uses_flat_scratch, 0
	.set _ZN9rocsolver6v33100L15rf_sumLU_kernelIfEEviiPiS2_PT_iS2_S2_S4_S2_S2_S4_.has_dyn_sized_stack, 0
	.set _ZN9rocsolver6v33100L15rf_sumLU_kernelIfEEviiPiS2_PT_iS2_S2_S4_S2_S2_S4_.has_recursion, 0
	.set _ZN9rocsolver6v33100L15rf_sumLU_kernelIfEEviiPiS2_PT_iS2_S2_S4_S2_S2_S4_.has_indirect_call, 0
	.section	.AMDGPU.csdata,"",@progbits
; Kernel info:
; codeLenInByte = 696
; TotalNumSgprs: 26
; NumVgprs: 14
; ScratchSize: 0
; MemoryBound: 0
; FloatMode: 240
; IeeeMode: 1
; LDSByteSize: 0 bytes/workgroup (compile time only)
; SGPRBlocks: 0
; VGPRBlocks: 0
; NumSGPRsForWavesPerEU: 26
; NumVGPRsForWavesPerEU: 14
; NamedBarCnt: 0
; Occupancy: 16
; WaveLimiterHint : 1
; COMPUTE_PGM_RSRC2:SCRATCH_EN: 0
; COMPUTE_PGM_RSRC2:USER_SGPR: 2
; COMPUTE_PGM_RSRC2:TRAP_HANDLER: 0
; COMPUTE_PGM_RSRC2:TGID_X_EN: 1
; COMPUTE_PGM_RSRC2:TGID_Y_EN: 0
; COMPUTE_PGM_RSRC2:TGID_Z_EN: 0
; COMPUTE_PGM_RSRC2:TIDIG_COMP_CNT: 0
	.section	.text._ZN9rocsolver6v33100L15rf_sumLU_kernelIdEEviiPiS2_PT_iS2_S2_S4_S2_S2_S4_,"axG",@progbits,_ZN9rocsolver6v33100L15rf_sumLU_kernelIdEEviiPiS2_PT_iS2_S2_S4_S2_S2_S4_,comdat
	.globl	_ZN9rocsolver6v33100L15rf_sumLU_kernelIdEEviiPiS2_PT_iS2_S2_S4_S2_S2_S4_ ; -- Begin function _ZN9rocsolver6v33100L15rf_sumLU_kernelIdEEviiPiS2_PT_iS2_S2_S4_S2_S2_S4_
	.p2align	8
	.type	_ZN9rocsolver6v33100L15rf_sumLU_kernelIdEEviiPiS2_PT_iS2_S2_S4_S2_S2_S4_,@function
_ZN9rocsolver6v33100L15rf_sumLU_kernelIdEEviiPiS2_PT_iS2_S2_S4_S2_S2_S4_: ; @_ZN9rocsolver6v33100L15rf_sumLU_kernelIdEEviiPiS2_PT_iS2_S2_S4_S2_S2_S4_
; %bb.0:
	s_clause 0x4
	s_load_b32 s20, s[0:1], 0x0
	s_load_b128 s[12:15], s[0:1], 0x8
	s_load_b64 s[2:3], s[0:1], 0x18
	s_load_b256 s[4:11], s[0:1], 0x28
	s_load_b128 s[16:19], s[0:1], 0x48
	s_mov_b32 s21, exec_lo
	s_wait_kmcnt 0x0
	v_cmpx_ge_i32_e64 s20, v0
	s_cbranch_execz .LBB2_3
; %bb.1:
	s_load_b32 s22, s[0:1], 0x64
	v_dual_mov_b32 v2, v0 :: v_dual_sub_nc_u32 v1, 0, v0
	s_mov_b32 s23, 0
	s_wait_kmcnt 0x0
	s_and_b32 s22, s22, 0xffff
.LBB2_2:                                ; =>This Inner Loop Header: Depth=1
	s_clause 0x1
	global_load_b32 v3, v2, s[12:13] scale_offset
	global_load_b32 v4, v2, s[4:5] scale_offset
	s_wait_loadcnt 0x0
	v_add3_u32 v3, v3, v4, v1
	v_subrev_nc_u32_e32 v1, s22, v1
	global_store_b32 v2, v3, s[10:11] scale_offset
	s_wait_xcnt 0x0
	v_add_nc_u32_e32 v2, s22, v2
	s_delay_alu instid0(VALU_DEP_1) | instskip(SKIP_1) | instid1(SALU_CYCLE_1)
	v_cmp_lt_i32_e32 vcc_lo, s20, v2
	s_or_b32 s23, vcc_lo, s23
	s_and_not1_b32 exec_lo, exec_lo, s23
	s_cbranch_execnz .LBB2_2
.LBB2_3:
	s_or_b32 exec_lo, exec_lo, s21
	s_wait_storecnt 0x0
	s_barrier_signal -1
	s_barrier_wait -1
	s_mov_b32 s21, exec_lo
	v_cmpx_gt_i32_e64 s20, v0
	s_cbranch_execz .LBB2_12
; %bb.4:
	s_load_b32 s0, s[0:1], 0x64
	s_wait_xcnt 0x0
	s_mov_b32 s1, 0
	s_wait_kmcnt 0x0
	s_and_b32 s0, s0, 0xffff
	s_branch .LBB2_6
.LBB2_5:                                ;   in Loop: Header=BB2_6 Depth=1
	s_or_b32 exec_lo, exec_lo, s21
	v_add_nc_u32_e32 v0, s0, v0
	s_delay_alu instid0(VALU_DEP_1) | instskip(SKIP_1) | instid1(SALU_CYCLE_1)
	v_cmp_le_i32_e32 vcc_lo, s20, v0
	s_or_b32 s1, vcc_lo, s1
	s_and_not1_b32 exec_lo, exec_lo, s1
	s_cbranch_execz .LBB2_12
.LBB2_6:                                ; =>This Loop Header: Depth=1
                                        ;     Child Loop BB2_8 Depth 2
                                        ;     Child Loop BB2_11 Depth 2
	v_ashrrev_i32_e32 v1, 31, v0
	s_mov_b32 s21, exec_lo
	s_delay_alu instid0(VALU_DEP_1)
	v_lshl_add_u64 v[2:3], v[0:1], 2, s[12:13]
	global_load_b64 v[4:5], v[2:3], off
	s_wait_loadcnt 0x0
	v_add_nc_u32_e32 v10, -1, v5
	s_wait_xcnt 0x0
	v_lshl_add_u64 v[2:3], v[0:1], 2, s[10:11]
	s_delay_alu instid0(VALU_DEP_2)
	v_cmpx_lt_i32_e64 v4, v10
	s_cbranch_execz .LBB2_9
; %bb.7:                                ;   in Loop: Header=BB2_6 Depth=1
	v_ashrrev_i32_e32 v5, 31, v4
	s_mov_b32 s22, 0
	s_mov_b32 s23, 0
	s_delay_alu instid0(VALU_DEP_1)
	v_lshl_add_u64 v[6:7], v[4:5], 2, s[14:15]
	v_lshl_add_u64 v[8:9], v[4:5], 3, s[2:3]
.LBB2_8:                                ;   Parent Loop BB2_6 Depth=1
                                        ; =>  This Inner Loop Header: Depth=2
	global_load_b32 v5, v[2:3], off
	global_load_b32 v11, v[6:7], off
	global_load_b64 v[12:13], v[8:9], off
	s_wait_xcnt 0x1
	v_add_nc_u64_e32 v[6:7], 4, v[6:7]
	s_wait_xcnt 0x0
	v_add_nc_u64_e32 v[8:9], 8, v[8:9]
	s_wait_loadcnt 0x2
	v_add_nc_u32_e32 v5, s23, v5
	s_add_co_i32 s23, s23, 1
	s_delay_alu instid0(SALU_CYCLE_1)
	v_add_nc_u32_e32 v14, s23, v4
	s_wait_loadcnt 0x1
	global_store_b32 v5, v11, s[16:17] scale_offset
	s_wait_loadcnt 0x0
	global_store_b64 v5, v[12:13], s[18:19] scale_offset
	v_cmp_ge_i32_e32 vcc_lo, v14, v10
	s_or_b32 s22, vcc_lo, s22
	s_wait_xcnt 0x0
	s_and_not1_b32 exec_lo, exec_lo, s22
	s_cbranch_execnz .LBB2_8
.LBB2_9:                                ;   in Loop: Header=BB2_6 Depth=1
	s_or_b32 exec_lo, exec_lo, s21
	v_lshl_add_u64 v[4:5], v[0:1], 2, s[4:5]
	s_mov_b32 s21, exec_lo
	global_load_b64 v[4:5], v[4:5], off
	s_wait_loadcnt 0x0
	v_cmpx_lt_i32_e64 v4, v5
	s_cbranch_execz .LBB2_5
; %bb.10:                               ;   in Loop: Header=BB2_6 Depth=1
	v_dual_mov_b32 v8, v4 :: v_dual_ashrrev_i32 v9, 31, v4
	v_sub_nc_u32_e32 v1, 0, v5
	s_mov_b32 s22, 0
	s_delay_alu instid0(VALU_DEP_2)
	v_lshl_add_u64 v[6:7], v[8:9], 2, s[6:7]
	v_lshl_add_u64 v[8:9], v[8:9], 3, s[8:9]
.LBB2_11:                               ;   Parent Loop BB2_6 Depth=1
                                        ; =>  This Inner Loop Header: Depth=2
	global_load_b32 v12, v[2:3], off offset:4
	global_load_b32 v13, v[6:7], off
	global_load_b64 v[10:11], v[8:9], off
	s_wait_xcnt 0x1
	v_add_nc_u64_e32 v[6:7], 4, v[6:7]
	s_wait_xcnt 0x0
	v_add_nc_u64_e32 v[8:9], 8, v[8:9]
	s_wait_loadcnt 0x2
	v_add3_u32 v12, v1, v4, v12
	v_add_nc_u32_e32 v4, 1, v4
	s_wait_loadcnt 0x1
	global_store_b32 v12, v13, s[16:17] scale_offset
	s_wait_loadcnt 0x0
	global_store_b64 v12, v[10:11], s[18:19] scale_offset
	v_cmp_ge_i32_e32 vcc_lo, v4, v5
	s_or_b32 s22, vcc_lo, s22
	s_wait_xcnt 0x0
	s_and_not1_b32 exec_lo, exec_lo, s22
	s_cbranch_execnz .LBB2_11
	s_branch .LBB2_5
.LBB2_12:
	s_endpgm
	.section	.rodata,"a",@progbits
	.p2align	6, 0x0
	.amdhsa_kernel _ZN9rocsolver6v33100L15rf_sumLU_kernelIdEEviiPiS2_PT_iS2_S2_S4_S2_S2_S4_
		.amdhsa_group_segment_fixed_size 0
		.amdhsa_private_segment_fixed_size 0
		.amdhsa_kernarg_size 344
		.amdhsa_user_sgpr_count 2
		.amdhsa_user_sgpr_dispatch_ptr 0
		.amdhsa_user_sgpr_queue_ptr 0
		.amdhsa_user_sgpr_kernarg_segment_ptr 1
		.amdhsa_user_sgpr_dispatch_id 0
		.amdhsa_user_sgpr_kernarg_preload_length 0
		.amdhsa_user_sgpr_kernarg_preload_offset 0
		.amdhsa_user_sgpr_private_segment_size 0
		.amdhsa_wavefront_size32 1
		.amdhsa_uses_dynamic_stack 0
		.amdhsa_enable_private_segment 0
		.amdhsa_system_sgpr_workgroup_id_x 1
		.amdhsa_system_sgpr_workgroup_id_y 0
		.amdhsa_system_sgpr_workgroup_id_z 0
		.amdhsa_system_sgpr_workgroup_info 0
		.amdhsa_system_vgpr_workitem_id 0
		.amdhsa_next_free_vgpr 15
		.amdhsa_next_free_sgpr 24
		.amdhsa_named_barrier_count 0
		.amdhsa_reserve_vcc 1
		.amdhsa_float_round_mode_32 0
		.amdhsa_float_round_mode_16_64 0
		.amdhsa_float_denorm_mode_32 3
		.amdhsa_float_denorm_mode_16_64 3
		.amdhsa_fp16_overflow 0
		.amdhsa_memory_ordered 1
		.amdhsa_forward_progress 1
		.amdhsa_inst_pref_size 6
		.amdhsa_round_robin_scheduling 0
		.amdhsa_exception_fp_ieee_invalid_op 0
		.amdhsa_exception_fp_denorm_src 0
		.amdhsa_exception_fp_ieee_div_zero 0
		.amdhsa_exception_fp_ieee_overflow 0
		.amdhsa_exception_fp_ieee_underflow 0
		.amdhsa_exception_fp_ieee_inexact 0
		.amdhsa_exception_int_div_zero 0
	.end_amdhsa_kernel
	.section	.text._ZN9rocsolver6v33100L15rf_sumLU_kernelIdEEviiPiS2_PT_iS2_S2_S4_S2_S2_S4_,"axG",@progbits,_ZN9rocsolver6v33100L15rf_sumLU_kernelIdEEviiPiS2_PT_iS2_S2_S4_S2_S2_S4_,comdat
.Lfunc_end2:
	.size	_ZN9rocsolver6v33100L15rf_sumLU_kernelIdEEviiPiS2_PT_iS2_S2_S4_S2_S2_S4_, .Lfunc_end2-_ZN9rocsolver6v33100L15rf_sumLU_kernelIdEEviiPiS2_PT_iS2_S2_S4_S2_S2_S4_
                                        ; -- End function
	.set _ZN9rocsolver6v33100L15rf_sumLU_kernelIdEEviiPiS2_PT_iS2_S2_S4_S2_S2_S4_.num_vgpr, 15
	.set _ZN9rocsolver6v33100L15rf_sumLU_kernelIdEEviiPiS2_PT_iS2_S2_S4_S2_S2_S4_.num_agpr, 0
	.set _ZN9rocsolver6v33100L15rf_sumLU_kernelIdEEviiPiS2_PT_iS2_S2_S4_S2_S2_S4_.numbered_sgpr, 24
	.set _ZN9rocsolver6v33100L15rf_sumLU_kernelIdEEviiPiS2_PT_iS2_S2_S4_S2_S2_S4_.num_named_barrier, 0
	.set _ZN9rocsolver6v33100L15rf_sumLU_kernelIdEEviiPiS2_PT_iS2_S2_S4_S2_S2_S4_.private_seg_size, 0
	.set _ZN9rocsolver6v33100L15rf_sumLU_kernelIdEEviiPiS2_PT_iS2_S2_S4_S2_S2_S4_.uses_vcc, 1
	.set _ZN9rocsolver6v33100L15rf_sumLU_kernelIdEEviiPiS2_PT_iS2_S2_S4_S2_S2_S4_.uses_flat_scratch, 0
	.set _ZN9rocsolver6v33100L15rf_sumLU_kernelIdEEviiPiS2_PT_iS2_S2_S4_S2_S2_S4_.has_dyn_sized_stack, 0
	.set _ZN9rocsolver6v33100L15rf_sumLU_kernelIdEEviiPiS2_PT_iS2_S2_S4_S2_S2_S4_.has_recursion, 0
	.set _ZN9rocsolver6v33100L15rf_sumLU_kernelIdEEviiPiS2_PT_iS2_S2_S4_S2_S2_S4_.has_indirect_call, 0
	.section	.AMDGPU.csdata,"",@progbits
; Kernel info:
; codeLenInByte = 704
; TotalNumSgprs: 26
; NumVgprs: 15
; ScratchSize: 0
; MemoryBound: 0
; FloatMode: 240
; IeeeMode: 1
; LDSByteSize: 0 bytes/workgroup (compile time only)
; SGPRBlocks: 0
; VGPRBlocks: 0
; NumSGPRsForWavesPerEU: 26
; NumVGPRsForWavesPerEU: 15
; NamedBarCnt: 0
; Occupancy: 16
; WaveLimiterHint : 1
; COMPUTE_PGM_RSRC2:SCRATCH_EN: 0
; COMPUTE_PGM_RSRC2:USER_SGPR: 2
; COMPUTE_PGM_RSRC2:TRAP_HANDLER: 0
; COMPUTE_PGM_RSRC2:TGID_X_EN: 1
; COMPUTE_PGM_RSRC2:TGID_Y_EN: 0
; COMPUTE_PGM_RSRC2:TGID_Z_EN: 0
; COMPUTE_PGM_RSRC2:TIDIG_COMP_CNT: 0
	.section	.AMDGPU.gpr_maximums,"",@progbits
	.set amdgpu.max_num_vgpr, 0
	.set amdgpu.max_num_agpr, 0
	.set amdgpu.max_num_sgpr, 0
	.section	.AMDGPU.csdata,"",@progbits
	.type	__hip_cuid_3bcf622d4f1e33af,@object ; @__hip_cuid_3bcf622d4f1e33af
	.section	.bss,"aw",@nobits
	.globl	__hip_cuid_3bcf622d4f1e33af
__hip_cuid_3bcf622d4f1e33af:
	.byte	0                               ; 0x0
	.size	__hip_cuid_3bcf622d4f1e33af, 1

	.ident	"AMD clang version 22.0.0git (https://github.com/RadeonOpenCompute/llvm-project roc-7.2.4 26084 f58b06dce1f9c15707c5f808fd002e18c2accf7e)"
	.section	".note.GNU-stack","",@progbits
	.addrsig
	.addrsig_sym __hip_cuid_3bcf622d4f1e33af
	.amdgpu_metadata
---
amdhsa.kernels:
  - .args:
      - .address_space:  global
        .offset:         0
        .size:           8
        .value_kind:     global_buffer
      - .offset:         8
        .size:           4
        .value_kind:     by_value
      - .offset:         12
        .size:           4
        .value_kind:     by_value
      - .offset:         16
        .size:           4
        .value_kind:     by_value
      - .offset:         24
        .size:           4
        .value_kind:     hidden_block_count_x
      - .offset:         28
        .size:           4
        .value_kind:     hidden_block_count_y
      - .offset:         32
        .size:           4
        .value_kind:     hidden_block_count_z
      - .offset:         36
        .size:           2
        .value_kind:     hidden_group_size_x
      - .offset:         38
        .size:           2
        .value_kind:     hidden_group_size_y
      - .offset:         40
        .size:           2
        .value_kind:     hidden_group_size_z
      - .offset:         42
        .size:           2
        .value_kind:     hidden_remainder_x
      - .offset:         44
        .size:           2
        .value_kind:     hidden_remainder_y
      - .offset:         46
        .size:           2
        .value_kind:     hidden_remainder_z
      - .offset:         64
        .size:           8
        .value_kind:     hidden_global_offset_x
      - .offset:         72
        .size:           8
        .value_kind:     hidden_global_offset_y
      - .offset:         80
        .size:           8
        .value_kind:     hidden_global_offset_z
      - .offset:         88
        .size:           2
        .value_kind:     hidden_grid_dims
    .group_segment_fixed_size: 0
    .kernarg_segment_align: 8
    .kernarg_segment_size: 280
    .language:       OpenCL C
    .language_version:
      - 2
      - 0
    .max_flat_workgroup_size: 1024
    .name:           _ZN9rocsolver6v33100L10reset_infoIiiiEEvPT_T0_T1_S4_
    .private_segment_fixed_size: 0
    .sgpr_count:     9
    .sgpr_spill_count: 0
    .symbol:         _ZN9rocsolver6v33100L10reset_infoIiiiEEvPT_T0_T1_S4_.kd
    .uniform_work_group_size: 1
    .uses_dynamic_stack: false
    .vgpr_count:     2
    .vgpr_spill_count: 0
    .wavefront_size: 32
  - .args:
      - .offset:         0
        .size:           4
        .value_kind:     by_value
      - .offset:         4
        .size:           4
        .value_kind:     by_value
      - .address_space:  global
        .offset:         8
        .size:           8
        .value_kind:     global_buffer
      - .address_space:  global
        .offset:         16
        .size:           8
        .value_kind:     global_buffer
      - .address_space:  global
        .offset:         24
        .size:           8
        .value_kind:     global_buffer
      - .offset:         32
        .size:           4
        .value_kind:     by_value
      - .address_space:  global
        .offset:         40
        .size:           8
        .value_kind:     global_buffer
      - .address_space:  global
        .offset:         48
        .size:           8
        .value_kind:     global_buffer
      - .address_space:  global
        .offset:         56
        .size:           8
        .value_kind:     global_buffer
      - .address_space:  global
        .offset:         64
        .size:           8
        .value_kind:     global_buffer
      - .address_space:  global
        .offset:         72
        .size:           8
        .value_kind:     global_buffer
      - .address_space:  global
        .offset:         80
        .size:           8
        .value_kind:     global_buffer
      - .offset:         88
        .size:           4
        .value_kind:     hidden_block_count_x
      - .offset:         92
        .size:           4
        .value_kind:     hidden_block_count_y
      - .offset:         96
        .size:           4
        .value_kind:     hidden_block_count_z
      - .offset:         100
        .size:           2
        .value_kind:     hidden_group_size_x
      - .offset:         102
        .size:           2
        .value_kind:     hidden_group_size_y
      - .offset:         104
        .size:           2
        .value_kind:     hidden_group_size_z
      - .offset:         106
        .size:           2
        .value_kind:     hidden_remainder_x
      - .offset:         108
        .size:           2
        .value_kind:     hidden_remainder_y
      - .offset:         110
        .size:           2
        .value_kind:     hidden_remainder_z
      - .offset:         128
        .size:           8
        .value_kind:     hidden_global_offset_x
      - .offset:         136
        .size:           8
        .value_kind:     hidden_global_offset_y
      - .offset:         144
        .size:           8
        .value_kind:     hidden_global_offset_z
      - .offset:         152
        .size:           2
        .value_kind:     hidden_grid_dims
    .group_segment_fixed_size: 0
    .kernarg_segment_align: 8
    .kernarg_segment_size: 344
    .language:       OpenCL C
    .language_version:
      - 2
      - 0
    .max_flat_workgroup_size: 1024
    .name:           _ZN9rocsolver6v33100L15rf_sumLU_kernelIfEEviiPiS2_PT_iS2_S2_S4_S2_S2_S4_
    .private_segment_fixed_size: 0
    .sgpr_count:     26
    .sgpr_spill_count: 0
    .symbol:         _ZN9rocsolver6v33100L15rf_sumLU_kernelIfEEviiPiS2_PT_iS2_S2_S4_S2_S2_S4_.kd
    .uniform_work_group_size: 1
    .uses_dynamic_stack: false
    .vgpr_count:     14
    .vgpr_spill_count: 0
    .wavefront_size: 32
  - .args:
      - .offset:         0
        .size:           4
        .value_kind:     by_value
      - .offset:         4
        .size:           4
        .value_kind:     by_value
      - .address_space:  global
        .offset:         8
        .size:           8
        .value_kind:     global_buffer
      - .address_space:  global
        .offset:         16
        .size:           8
        .value_kind:     global_buffer
      - .address_space:  global
        .offset:         24
        .size:           8
        .value_kind:     global_buffer
      - .offset:         32
        .size:           4
        .value_kind:     by_value
      - .address_space:  global
        .offset:         40
        .size:           8
        .value_kind:     global_buffer
      - .address_space:  global
        .offset:         48
        .size:           8
        .value_kind:     global_buffer
      - .address_space:  global
        .offset:         56
        .size:           8
        .value_kind:     global_buffer
      - .address_space:  global
        .offset:         64
        .size:           8
        .value_kind:     global_buffer
      - .address_space:  global
        .offset:         72
        .size:           8
        .value_kind:     global_buffer
      - .address_space:  global
        .offset:         80
        .size:           8
        .value_kind:     global_buffer
      - .offset:         88
        .size:           4
        .value_kind:     hidden_block_count_x
      - .offset:         92
        .size:           4
        .value_kind:     hidden_block_count_y
      - .offset:         96
        .size:           4
        .value_kind:     hidden_block_count_z
      - .offset:         100
        .size:           2
        .value_kind:     hidden_group_size_x
      - .offset:         102
        .size:           2
        .value_kind:     hidden_group_size_y
      - .offset:         104
        .size:           2
        .value_kind:     hidden_group_size_z
      - .offset:         106
        .size:           2
        .value_kind:     hidden_remainder_x
      - .offset:         108
        .size:           2
        .value_kind:     hidden_remainder_y
      - .offset:         110
        .size:           2
        .value_kind:     hidden_remainder_z
      - .offset:         128
        .size:           8
        .value_kind:     hidden_global_offset_x
      - .offset:         136
        .size:           8
        .value_kind:     hidden_global_offset_y
      - .offset:         144
        .size:           8
        .value_kind:     hidden_global_offset_z
      - .offset:         152
        .size:           2
        .value_kind:     hidden_grid_dims
    .group_segment_fixed_size: 0
    .kernarg_segment_align: 8
    .kernarg_segment_size: 344
    .language:       OpenCL C
    .language_version:
      - 2
      - 0
    .max_flat_workgroup_size: 1024
    .name:           _ZN9rocsolver6v33100L15rf_sumLU_kernelIdEEviiPiS2_PT_iS2_S2_S4_S2_S2_S4_
    .private_segment_fixed_size: 0
    .sgpr_count:     26
    .sgpr_spill_count: 0
    .symbol:         _ZN9rocsolver6v33100L15rf_sumLU_kernelIdEEviiPiS2_PT_iS2_S2_S4_S2_S2_S4_.kd
    .uniform_work_group_size: 1
    .uses_dynamic_stack: false
    .vgpr_count:     15
    .vgpr_spill_count: 0
    .wavefront_size: 32
amdhsa.target:   amdgcn-amd-amdhsa--gfx1250
amdhsa.version:
  - 1
  - 2
...

	.end_amdgpu_metadata
